;; amdgpu-corpus repo=ROCm/rocFFT kind=compiled arch=gfx906 opt=O3
	.text
	.amdgcn_target "amdgcn-amd-amdhsa--gfx906"
	.amdhsa_code_object_version 6
	.protected	fft_rtc_back_len588_factors_7_3_4_7_wgs_252_tpt_84_sp_ip_CI_unitstride_sbrr_C2R_dirReg ; -- Begin function fft_rtc_back_len588_factors_7_3_4_7_wgs_252_tpt_84_sp_ip_CI_unitstride_sbrr_C2R_dirReg
	.globl	fft_rtc_back_len588_factors_7_3_4_7_wgs_252_tpt_84_sp_ip_CI_unitstride_sbrr_C2R_dirReg
	.p2align	8
	.type	fft_rtc_back_len588_factors_7_3_4_7_wgs_252_tpt_84_sp_ip_CI_unitstride_sbrr_C2R_dirReg,@function
fft_rtc_back_len588_factors_7_3_4_7_wgs_252_tpt_84_sp_ip_CI_unitstride_sbrr_C2R_dirReg: ; @fft_rtc_back_len588_factors_7_3_4_7_wgs_252_tpt_84_sp_ip_CI_unitstride_sbrr_C2R_dirReg
; %bb.0:
	s_load_dwordx2 s[2:3], s[4:5], 0x50
	s_load_dwordx4 s[8:11], s[4:5], 0x0
	s_load_dwordx2 s[12:13], s[4:5], 0x18
	v_mul_u32_u24_e32 v1, 0x30d, v0
	v_lshrrev_b32_e32 v1, 16, v1
	v_mad_u64_u32 v[1:2], s[0:1], s6, 3, v[1:2]
	v_mov_b32_e32 v5, 0
	s_waitcnt lgkmcnt(0)
	v_cmp_lt_u64_e64 s[0:1], s[10:11], 2
	v_mov_b32_e32 v2, v5
	v_mov_b32_e32 v3, 0
	;; [unrolled: 1-line block ×3, first 2 shown]
	s_and_b64 vcc, exec, s[0:1]
	v_mov_b32_e32 v4, 0
	v_mov_b32_e32 v9, v1
	s_cbranch_vccnz .LBB0_8
; %bb.1:
	s_load_dwordx2 s[0:1], s[4:5], 0x10
	s_add_u32 s6, s12, 8
	s_addc_u32 s7, s13, 0
	v_mov_b32_e32 v3, 0
	v_mov_b32_e32 v8, v2
	s_waitcnt lgkmcnt(0)
	s_add_u32 s16, s0, 8
	s_mov_b64 s[14:15], 1
	v_mov_b32_e32 v4, 0
	s_addc_u32 s17, s1, 0
	v_mov_b32_e32 v7, v1
.LBB0_2:                                ; =>This Inner Loop Header: Depth=1
	s_load_dwordx2 s[18:19], s[16:17], 0x0
                                        ; implicit-def: $vgpr9_vgpr10
	s_waitcnt lgkmcnt(0)
	v_or_b32_e32 v6, s19, v8
	v_cmp_ne_u64_e32 vcc, 0, v[5:6]
	s_and_saveexec_b64 s[0:1], vcc
	s_xor_b64 s[20:21], exec, s[0:1]
	s_cbranch_execz .LBB0_4
; %bb.3:                                ;   in Loop: Header=BB0_2 Depth=1
	v_cvt_f32_u32_e32 v2, s18
	v_cvt_f32_u32_e32 v6, s19
	s_sub_u32 s0, 0, s18
	s_subb_u32 s1, 0, s19
	v_mac_f32_e32 v2, 0x4f800000, v6
	v_rcp_f32_e32 v2, v2
	v_mul_f32_e32 v2, 0x5f7ffffc, v2
	v_mul_f32_e32 v6, 0x2f800000, v2
	v_trunc_f32_e32 v6, v6
	v_mac_f32_e32 v2, 0xcf800000, v6
	v_cvt_u32_f32_e32 v6, v6
	v_cvt_u32_f32_e32 v2, v2
	v_mul_lo_u32 v9, s0, v6
	v_mul_hi_u32 v10, s0, v2
	v_mul_lo_u32 v12, s1, v2
	v_mul_lo_u32 v11, s0, v2
	v_add_u32_e32 v9, v10, v9
	v_add_u32_e32 v9, v9, v12
	v_mul_hi_u32 v10, v2, v11
	v_mul_lo_u32 v12, v2, v9
	v_mul_hi_u32 v14, v2, v9
	v_mul_hi_u32 v13, v6, v11
	v_mul_lo_u32 v11, v6, v11
	v_mul_hi_u32 v15, v6, v9
	v_add_co_u32_e32 v10, vcc, v10, v12
	v_addc_co_u32_e32 v12, vcc, 0, v14, vcc
	v_mul_lo_u32 v9, v6, v9
	v_add_co_u32_e32 v10, vcc, v10, v11
	v_addc_co_u32_e32 v10, vcc, v12, v13, vcc
	v_addc_co_u32_e32 v11, vcc, 0, v15, vcc
	v_add_co_u32_e32 v9, vcc, v10, v9
	v_addc_co_u32_e32 v10, vcc, 0, v11, vcc
	v_add_co_u32_e32 v2, vcc, v2, v9
	v_addc_co_u32_e32 v6, vcc, v6, v10, vcc
	v_mul_lo_u32 v9, s0, v6
	v_mul_hi_u32 v10, s0, v2
	v_mul_lo_u32 v11, s1, v2
	v_mul_lo_u32 v12, s0, v2
	v_add_u32_e32 v9, v10, v9
	v_add_u32_e32 v9, v9, v11
	v_mul_lo_u32 v13, v2, v9
	v_mul_hi_u32 v14, v2, v12
	v_mul_hi_u32 v15, v2, v9
	;; [unrolled: 1-line block ×3, first 2 shown]
	v_mul_lo_u32 v12, v6, v12
	v_mul_hi_u32 v10, v6, v9
	v_add_co_u32_e32 v13, vcc, v14, v13
	v_addc_co_u32_e32 v14, vcc, 0, v15, vcc
	v_mul_lo_u32 v9, v6, v9
	v_add_co_u32_e32 v12, vcc, v13, v12
	v_addc_co_u32_e32 v11, vcc, v14, v11, vcc
	v_addc_co_u32_e32 v10, vcc, 0, v10, vcc
	v_add_co_u32_e32 v9, vcc, v11, v9
	v_addc_co_u32_e32 v10, vcc, 0, v10, vcc
	v_add_co_u32_e32 v2, vcc, v2, v9
	v_addc_co_u32_e32 v6, vcc, v6, v10, vcc
	v_mad_u64_u32 v[9:10], s[0:1], v7, v6, 0
	v_mul_hi_u32 v11, v7, v2
	v_add_co_u32_e32 v13, vcc, v11, v9
	v_addc_co_u32_e32 v14, vcc, 0, v10, vcc
	v_mad_u64_u32 v[9:10], s[0:1], v8, v2, 0
	v_mad_u64_u32 v[11:12], s[0:1], v8, v6, 0
	v_add_co_u32_e32 v2, vcc, v13, v9
	v_addc_co_u32_e32 v2, vcc, v14, v10, vcc
	v_addc_co_u32_e32 v6, vcc, 0, v12, vcc
	v_add_co_u32_e32 v2, vcc, v2, v11
	v_addc_co_u32_e32 v6, vcc, 0, v6, vcc
	v_mul_lo_u32 v11, s19, v2
	v_mul_lo_u32 v12, s18, v6
	v_mad_u64_u32 v[9:10], s[0:1], s18, v2, 0
	v_add3_u32 v10, v10, v12, v11
	v_sub_u32_e32 v11, v8, v10
	v_mov_b32_e32 v12, s19
	v_sub_co_u32_e32 v9, vcc, v7, v9
	v_subb_co_u32_e64 v11, s[0:1], v11, v12, vcc
	v_subrev_co_u32_e64 v12, s[0:1], s18, v9
	v_subbrev_co_u32_e64 v11, s[0:1], 0, v11, s[0:1]
	v_cmp_le_u32_e64 s[0:1], s19, v11
	v_cndmask_b32_e64 v13, 0, -1, s[0:1]
	v_cmp_le_u32_e64 s[0:1], s18, v12
	v_cndmask_b32_e64 v12, 0, -1, s[0:1]
	v_cmp_eq_u32_e64 s[0:1], s19, v11
	v_cndmask_b32_e64 v11, v13, v12, s[0:1]
	v_add_co_u32_e64 v12, s[0:1], 2, v2
	v_addc_co_u32_e64 v13, s[0:1], 0, v6, s[0:1]
	v_add_co_u32_e64 v14, s[0:1], 1, v2
	v_addc_co_u32_e64 v15, s[0:1], 0, v6, s[0:1]
	v_subb_co_u32_e32 v10, vcc, v8, v10, vcc
	v_cmp_ne_u32_e64 s[0:1], 0, v11
	v_cmp_le_u32_e32 vcc, s19, v10
	v_cndmask_b32_e64 v11, v15, v13, s[0:1]
	v_cndmask_b32_e64 v13, 0, -1, vcc
	v_cmp_le_u32_e32 vcc, s18, v9
	v_cndmask_b32_e64 v9, 0, -1, vcc
	v_cmp_eq_u32_e32 vcc, s19, v10
	v_cndmask_b32_e32 v9, v13, v9, vcc
	v_cmp_ne_u32_e32 vcc, 0, v9
	v_cndmask_b32_e32 v10, v6, v11, vcc
	v_cndmask_b32_e64 v6, v14, v12, s[0:1]
	v_cndmask_b32_e32 v9, v2, v6, vcc
.LBB0_4:                                ;   in Loop: Header=BB0_2 Depth=1
	s_andn2_saveexec_b64 s[0:1], s[20:21]
	s_cbranch_execz .LBB0_6
; %bb.5:                                ;   in Loop: Header=BB0_2 Depth=1
	v_cvt_f32_u32_e32 v2, s18
	s_sub_i32 s20, 0, s18
	v_rcp_iflag_f32_e32 v2, v2
	v_mul_f32_e32 v2, 0x4f7ffffe, v2
	v_cvt_u32_f32_e32 v2, v2
	v_mul_lo_u32 v6, s20, v2
	v_mul_hi_u32 v6, v2, v6
	v_add_u32_e32 v2, v2, v6
	v_mul_hi_u32 v2, v7, v2
	v_mul_lo_u32 v6, v2, s18
	v_add_u32_e32 v9, 1, v2
	v_sub_u32_e32 v6, v7, v6
	v_subrev_u32_e32 v10, s18, v6
	v_cmp_le_u32_e32 vcc, s18, v6
	v_cndmask_b32_e32 v6, v6, v10, vcc
	v_cndmask_b32_e32 v2, v2, v9, vcc
	v_add_u32_e32 v9, 1, v2
	v_cmp_le_u32_e32 vcc, s18, v6
	v_cndmask_b32_e32 v9, v2, v9, vcc
	v_mov_b32_e32 v10, v5
.LBB0_6:                                ;   in Loop: Header=BB0_2 Depth=1
	s_or_b64 exec, exec, s[0:1]
	v_mul_lo_u32 v2, v10, s18
	v_mul_lo_u32 v6, v9, s19
	v_mad_u64_u32 v[11:12], s[0:1], v9, s18, 0
	s_load_dwordx2 s[0:1], s[6:7], 0x0
	s_add_u32 s14, s14, 1
	v_add3_u32 v2, v12, v6, v2
	v_sub_co_u32_e32 v6, vcc, v7, v11
	v_subb_co_u32_e32 v2, vcc, v8, v2, vcc
	s_waitcnt lgkmcnt(0)
	v_mul_lo_u32 v2, s0, v2
	v_mul_lo_u32 v7, s1, v6
	v_mad_u64_u32 v[3:4], s[0:1], s0, v6, v[3:4]
	s_addc_u32 s15, s15, 0
	s_add_u32 s6, s6, 8
	v_add3_u32 v4, v7, v4, v2
	v_mov_b32_e32 v6, s10
	v_mov_b32_e32 v7, s11
	s_addc_u32 s7, s7, 0
	v_cmp_ge_u64_e32 vcc, s[14:15], v[6:7]
	s_add_u32 s16, s16, 8
	s_addc_u32 s17, s17, 0
	s_cbranch_vccnz .LBB0_8
; %bb.7:                                ;   in Loop: Header=BB0_2 Depth=1
	v_mov_b32_e32 v7, v9
	v_mov_b32_e32 v8, v10
	s_branch .LBB0_2
.LBB0_8:
	s_lshl_b64 s[0:1], s[10:11], 3
	s_add_u32 s0, s12, s0
	s_addc_u32 s1, s13, s1
	s_load_dwordx2 s[0:1], s[0:1], 0x0
	s_mov_b32 s6, 0xaaaaaaab
	v_mul_hi_u32 v5, v1, s6
	s_waitcnt lgkmcnt(0)
	v_mul_lo_u32 v6, s0, v10
	v_mul_lo_u32 v7, s1, v9
	v_mad_u64_u32 v[2:3], s[0:1], s0, v9, v[3:4]
	s_load_dwordx2 s[0:1], s[4:5], 0x20
	s_mov_b32 s4, 0x30c30c4
	v_lshrrev_b32_e32 v4, 1, v5
	v_mul_hi_u32 v5, v0, s4
	v_lshl_add_u32 v4, v4, 1, v4
	v_add3_u32 v3, v7, v3, v6
	v_sub_u32_e32 v1, v1, v4
	v_mul_u32_u24_e32 v1, 0x24d, v1
	s_waitcnt lgkmcnt(0)
	v_cmp_gt_u64_e64 s[0:1], s[0:1], v[9:10]
	v_mul_u32_u24_e32 v4, 0x54, v5
	v_lshlrev_b64 v[16:17], 3, v[2:3]
	v_sub_u32_e32 v14, v0, v4
	v_lshlrev_b32_e32 v23, 3, v1
	s_and_saveexec_b64 s[4:5], s[0:1]
	s_cbranch_execz .LBB0_12
; %bb.9:
	v_mov_b32_e32 v15, 0
	v_mov_b32_e32 v0, s3
	v_add_co_u32_e32 v2, vcc, s2, v16
	v_lshlrev_b64 v[3:4], 3, v[14:15]
	v_addc_co_u32_e32 v0, vcc, v0, v17, vcc
	v_add_co_u32_e32 v3, vcc, v2, v3
	v_addc_co_u32_e32 v4, vcc, v0, v4, vcc
	global_load_dwordx2 v[5:6], v[3:4], off
	global_load_dwordx2 v[7:8], v[3:4], off offset:672
	global_load_dwordx2 v[9:10], v[3:4], off offset:1344
	;; [unrolled: 1-line block ×6, first 2 shown]
	v_lshlrev_b32_e32 v3, 3, v14
	s_movk_i32 s6, 0x53
	v_add3_u32 v3, 0, v23, v3
	v_cmp_eq_u32_e32 vcc, s6, v14
	v_add_u32_e32 v4, 0x800, v3
	s_waitcnt vmcnt(5)
	ds_write2_b64 v3, v[5:6], v[7:8] offset1:84
	s_waitcnt vmcnt(3)
	ds_write2_b64 v3, v[9:10], v[11:12] offset0:168 offset1:252
	s_waitcnt vmcnt(1)
	ds_write2_b64 v4, v[18:19], v[20:21] offset0:80 offset1:164
	s_waitcnt vmcnt(0)
	ds_write_b64 v3, v[24:25] offset:4032
	s_and_saveexec_b64 s[6:7], vcc
	s_cbranch_execz .LBB0_11
; %bb.10:
	v_add_co_u32_e32 v4, vcc, 0x1000, v2
	v_addc_co_u32_e32 v5, vcc, 0, v0, vcc
	global_load_dwordx2 v[4:5], v[4:5], off offset:608
	v_mov_b32_e32 v14, 0x53
	s_waitcnt vmcnt(0)
	ds_write_b64 v3, v[4:5] offset:4040
.LBB0_11:
	s_or_b64 exec, exec, s[6:7]
.LBB0_12:
	s_or_b64 exec, exec, s[4:5]
	v_lshl_add_u32 v22, v1, 3, 0
	v_lshlrev_b32_e32 v4, 3, v14
	v_add_u32_e32 v24, v22, v4
	s_waitcnt lgkmcnt(0)
	s_barrier
	v_sub_u32_e32 v5, v22, v4
	ds_read_b32 v1, v24
	ds_read_b32 v2, v5 offset:4704
	s_add_u32 s6, s8, 0x1228
	s_addc_u32 s7, s9, 0
	v_cmp_ne_u32_e32 vcc, 0, v14
	s_waitcnt lgkmcnt(0)
	v_add_f32_e32 v0, v2, v1
	v_sub_f32_e32 v1, v1, v2
                                        ; implicit-def: $vgpr2_vgpr3
	s_and_saveexec_b64 s[4:5], vcc
	s_xor_b64 s[4:5], exec, s[4:5]
	s_cbranch_execz .LBB0_14
; %bb.13:
	v_mov_b32_e32 v15, 0
	v_lshlrev_b64 v[2:3], 3, v[14:15]
	v_mov_b32_e32 v6, s7
	v_add_co_u32_e32 v2, vcc, s6, v2
	v_addc_co_u32_e32 v3, vcc, v6, v3, vcc
	global_load_dwordx2 v[2:3], v[2:3], off
	ds_read_b32 v6, v5 offset:4708
	ds_read_b32 v7, v24 offset:4
	s_waitcnt lgkmcnt(0)
	v_add_f32_e32 v10, v6, v7
	v_sub_f32_e32 v6, v7, v6
	s_waitcnt vmcnt(0)
	v_fma_f32 v11, v1, v3, v0
	v_fma_f32 v7, v10, v3, v6
	v_fma_f32 v8, -v1, v3, v0
	v_fma_f32 v9, v10, v3, -v6
	v_fma_f32 v6, -v2, v10, v11
	v_fmac_f32_e32 v7, v1, v2
	v_fmac_f32_e32 v8, v2, v10
	v_fmac_f32_e32 v9, v1, v2
	v_mov_b32_e32 v2, v14
	ds_write_b64 v24, v[6:7]
	ds_write_b64 v5, v[8:9] offset:4704
	v_mov_b32_e32 v3, v15
                                        ; implicit-def: $vgpr0
.LBB0_14:
	s_andn2_saveexec_b64 s[4:5], s[4:5]
	s_cbranch_execz .LBB0_16
; %bb.15:
	ds_write_b64 v24, v[0:1]
	ds_read_b64 v[0:1], v22 offset:2352
	v_mov_b32_e32 v2, 0
	v_mov_b32_e32 v3, 0
	s_waitcnt lgkmcnt(0)
	v_add_f32_e32 v0, v0, v0
	v_mul_f32_e32 v1, -2.0, v1
	ds_write_b64 v22, v[0:1] offset:2352
.LBB0_16:
	s_or_b64 exec, exec, s[4:5]
	v_lshlrev_b64 v[0:1], 3, v[2:3]
	v_mov_b32_e32 v2, s7
	v_add_co_u32_e32 v0, vcc, s6, v0
	v_addc_co_u32_e32 v1, vcc, v2, v1, vcc
	global_load_dwordx2 v[2:3], v[0:1], off offset:672
	global_load_dwordx2 v[6:7], v[0:1], off offset:1344
	ds_read_b64 v[8:9], v24 offset:672
	ds_read_b64 v[10:11], v5 offset:4032
	v_cmp_gt_u32_e32 vcc, 42, v14
	s_waitcnt lgkmcnt(0)
	v_add_f32_e32 v12, v8, v10
	v_add_f32_e32 v13, v11, v9
	v_sub_f32_e32 v15, v8, v10
	v_sub_f32_e32 v8, v9, v11
	s_waitcnt vmcnt(1)
	v_fma_f32 v18, v15, v3, v12
	v_fma_f32 v9, v13, v3, v8
	v_fma_f32 v10, -v15, v3, v12
	v_fma_f32 v11, v13, v3, -v8
	v_fma_f32 v8, -v2, v13, v18
	v_fmac_f32_e32 v9, v15, v2
	v_fmac_f32_e32 v10, v2, v13
	;; [unrolled: 1-line block ×3, first 2 shown]
	ds_write_b64 v24, v[8:9] offset:672
	ds_write_b64 v5, v[10:11] offset:4032
	ds_read_b64 v[2:3], v24 offset:1344
	ds_read_b64 v[8:9], v5 offset:3360
	s_waitcnt lgkmcnt(0)
	v_add_f32_e32 v10, v2, v8
	v_add_f32_e32 v11, v9, v3
	v_sub_f32_e32 v12, v2, v8
	v_sub_f32_e32 v2, v3, v9
	s_waitcnt vmcnt(0)
	v_fma_f32 v13, v12, v7, v10
	v_fma_f32 v3, v11, v7, v2
	v_fma_f32 v8, -v12, v7, v10
	v_fma_f32 v9, v11, v7, -v2
	v_fma_f32 v2, -v6, v11, v13
	v_fmac_f32_e32 v3, v12, v6
	v_fmac_f32_e32 v8, v6, v11
	;; [unrolled: 1-line block ×3, first 2 shown]
	ds_write_b64 v24, v[2:3] offset:1344
	ds_write_b64 v5, v[8:9] offset:3360
	s_and_saveexec_b64 s[4:5], vcc
	s_cbranch_execz .LBB0_18
; %bb.17:
	global_load_dwordx2 v[0:1], v[0:1], off offset:2016
	ds_read_b64 v[2:3], v24 offset:2016
	ds_read_b64 v[6:7], v5 offset:2688
	s_waitcnt lgkmcnt(0)
	v_add_f32_e32 v8, v2, v6
	v_add_f32_e32 v9, v7, v3
	v_sub_f32_e32 v10, v2, v6
	v_sub_f32_e32 v3, v3, v7
	s_waitcnt vmcnt(0)
	v_fma_f32 v11, v10, v1, v8
	v_fma_f32 v2, v9, v1, v3
	v_fma_f32 v6, -v10, v1, v8
	v_fma_f32 v7, v9, v1, -v3
	v_fma_f32 v1, -v0, v9, v11
	v_fmac_f32_e32 v2, v10, v0
	v_fmac_f32_e32 v6, v0, v9
	;; [unrolled: 1-line block ×3, first 2 shown]
	ds_write_b64 v24, v[1:2] offset:2016
	ds_write_b64 v5, v[6:7] offset:2688
.LBB0_18:
	s_or_b64 exec, exec, s[4:5]
	v_add3_u32 v15, 0, v4, v23
	v_add_u32_e32 v11, 0x800, v15
	s_waitcnt lgkmcnt(0)
	s_barrier
	s_barrier
	ds_read2_b64 v[0:3], v15 offset0:84 offset1:168
	ds_read2_b64 v[4:7], v11 offset0:164 offset1:248
	s_mov_b32 s4, 0xbf5ff5aa
	s_mov_b32 s5, 0xbf3bfb3b
	v_mad_u32_u24 v33, v14, 48, v15
	v_cmp_gt_u32_e32 vcc, 28, v14
	s_waitcnt lgkmcnt(0)
	v_add_f32_e32 v12, v0, v6
	v_sub_f32_e32 v18, v0, v6
	v_add_u32_e32 v6, 0x400, v15
	v_add_f32_e32 v13, v1, v7
	v_sub_f32_e32 v19, v1, v7
	ds_read2_b64 v[7:10], v6 offset0:124 offset1:208
	ds_read_b64 v[0:1], v24
	v_add_f32_e32 v20, v2, v4
	v_add_f32_e32 v21, v3, v5
	v_sub_f32_e32 v2, v2, v4
	s_waitcnt lgkmcnt(1)
	v_add_f32_e32 v4, v7, v9
	v_sub_f32_e32 v7, v9, v7
	v_add_f32_e32 v9, v20, v12
	v_sub_f32_e32 v3, v3, v5
	;; [unrolled: 2-line block ×3, first 2 shown]
	v_add_f32_e32 v9, v4, v9
	v_add_f32_e32 v10, v21, v13
	;; [unrolled: 1-line block ×3, first 2 shown]
	s_waitcnt lgkmcnt(0)
	v_add_f32_e32 v0, v0, v9
	v_sub_f32_e32 v25, v20, v12
	v_sub_f32_e32 v12, v12, v4
	;; [unrolled: 1-line block ×6, first 2 shown]
	v_add_f32_e32 v21, v7, v2
	v_add_f32_e32 v1, v1, v10
	v_sub_f32_e32 v26, v7, v2
	v_sub_f32_e32 v7, v18, v7
	;; [unrolled: 1-line block ×3, first 2 shown]
	v_add_f32_e32 v18, v21, v18
	v_add_f32_e32 v2, v8, v3
	v_sub_f32_e32 v21, v8, v3
	v_mov_b32_e32 v29, v0
	v_sub_f32_e32 v8, v19, v8
	v_sub_f32_e32 v28, v3, v19
	v_add_f32_e32 v19, v2, v19
	v_fmac_f32_e32 v29, 0xbf955555, v9
	v_mov_b32_e32 v9, v1
	v_mul_f32_e32 v2, 0x3f4a47b2, v12
	v_mul_f32_e32 v3, 0x3f4a47b2, v13
	v_mul_f32_e32 v12, 0x3f08b237, v26
	v_mul_f32_e32 v13, 0x3f08b237, v21
	v_fmac_f32_e32 v9, 0xbf955555, v10
	v_fma_f32 v10, v25, s5, -v2
	v_fmac_f32_e32 v2, 0x3d64c772, v4
	v_fma_f32 v21, v20, s5, -v3
	v_fmac_f32_e32 v3, 0x3d64c772, v5
	v_fma_f32 v26, v27, s4, -v12
	v_fmac_f32_e32 v12, 0xbeae86e6, v7
	v_fma_f32 v30, v28, s4, -v13
	v_fmac_f32_e32 v13, 0xbeae86e6, v8
	v_add_f32_e32 v31, v2, v29
	v_add_f32_e32 v32, v3, v9
	v_fmac_f32_e32 v12, 0xbee1c552, v18
	v_fmac_f32_e32 v13, 0xbee1c552, v19
	v_add_f32_e32 v2, v31, v13
	v_sub_f32_e32 v3, v32, v12
	s_barrier
	ds_write2_b64 v33, v[0:1], v[2:3] offset1:1
	v_mul_f32_e32 v0, 0x3d64c772, v4
	s_mov_b32 s4, 0x3f3bfb3b
	v_mul_f32_e32 v1, 0x3d64c772, v5
	v_fma_f32 v0, v25, s4, -v0
	v_fma_f32 v1, v20, s4, -v1
	v_mul_f32_e32 v4, 0xbf5ff5aa, v27
	s_mov_b32 s4, 0x3eae86e6
	v_mul_f32_e32 v5, 0xbf5ff5aa, v28
	v_fma_f32 v4, v7, s4, -v4
	v_fma_f32 v5, v8, s4, -v5
	v_add_f32_e32 v2, v0, v29
	v_add_f32_e32 v3, v1, v9
	v_fmac_f32_e32 v26, 0xbee1c552, v18
	v_fmac_f32_e32 v30, 0xbee1c552, v19
	v_add_f32_e32 v10, v10, v29
	v_add_f32_e32 v20, v21, v9
	v_fmac_f32_e32 v4, 0xbee1c552, v18
	v_fmac_f32_e32 v5, 0xbee1c552, v19
	v_sub_f32_e32 v0, v2, v30
	v_add_f32_e32 v1, v26, v3
	v_add_f32_e32 v7, v5, v10
	v_sub_f32_e32 v8, v20, v4
	v_add_f32_e32 v2, v30, v2
	v_sub_f32_e32 v3, v3, v26
	v_sub_f32_e32 v9, v10, v5
	v_add_f32_e32 v10, v4, v20
	v_sub_f32_e32 v4, v31, v13
	v_add_f32_e32 v5, v12, v32
	ds_write2_b64 v33, v[7:8], v[0:1] offset0:2 offset1:3
	ds_write2_b64 v33, v[2:3], v[9:10] offset0:4 offset1:5
	ds_write_b64 v33, v[4:5] offset:48
	s_waitcnt lgkmcnt(0)
	s_barrier
	ds_read_b64 v[12:13], v24
	ds_read_b64 v[20:21], v15 offset:3808
	s_waitcnt lgkmcnt(1)
	ds_read_b32 v13, v24 offset:4
	ds_read2_b64 v[8:11], v11 offset0:24 offset1:136
	ds_read2_b64 v[0:3], v15 offset0:84 offset1:196
                                        ; implicit-def: $vgpr19
	s_and_saveexec_b64 s[4:5], vcc
	s_cbranch_execz .LBB0_20
; %bb.19:
	ds_read2_b64 v[4:7], v6 offset0:40 offset1:236
	ds_read_b64 v[18:19], v15 offset:4480
.LBB0_20:
	s_or_b64 exec, exec, s[4:5]
	v_mov_b32_e32 v34, 37
	v_add_u16_e32 v25, 0x54, v14
	v_mul_lo_u16_sdwa v26, v25, v34 dst_sel:DWORD dst_unused:UNUSED_PAD src0_sel:BYTE_0 src1_sel:DWORD
	v_sub_u16_sdwa v27, v25, v26 dst_sel:DWORD dst_unused:UNUSED_PAD src0_sel:DWORD src1_sel:BYTE_1
	v_lshrrev_b16_e32 v27, 1, v27
	v_mul_lo_u16_sdwa v30, v14, v34 dst_sel:DWORD dst_unused:UNUSED_PAD src0_sel:BYTE_0 src1_sel:DWORD
	v_and_b32_e32 v27, 0x7f, v27
	v_sub_u16_sdwa v31, v14, v30 dst_sel:DWORD dst_unused:UNUSED_PAD src0_sel:DWORD src1_sel:BYTE_1
	v_add_u16_sdwa v26, v27, v26 dst_sel:DWORD dst_unused:UNUSED_PAD src0_sel:DWORD src1_sel:BYTE_1
	v_lshrrev_b16_e32 v31, 1, v31
	v_lshrrev_b16_e32 v35, 2, v26
	v_and_b32_e32 v31, 0x7f, v31
	v_mul_lo_u16_e32 v26, 7, v35
	v_add_u16_sdwa v30, v31, v30 dst_sel:DWORD dst_unused:UNUSED_PAD src0_sel:DWORD src1_sel:BYTE_1
	v_sub_u16_e32 v36, v25, v26
	v_mov_b32_e32 v37, 4
	v_lshrrev_b16_e32 v38, 2, v30
	v_lshlrev_b32_sdwa v26, v37, v36 dst_sel:DWORD dst_unused:UNUSED_PAD src0_sel:DWORD src1_sel:BYTE_0
	v_mul_lo_u16_e32 v30, 7, v38
	global_load_dwordx4 v[26:29], v26, s[8:9]
	v_sub_u16_e32 v39, v14, v30
	v_lshlrev_b32_sdwa v30, v37, v39 dst_sel:DWORD dst_unused:UNUSED_PAD src0_sel:DWORD src1_sel:BYTE_0
	global_load_dwordx4 v[30:33], v30, s[8:9]
	s_movk_i32 s6, 0xa8
	s_waitcnt vmcnt(1) lgkmcnt(3)
	v_mul_f32_e32 v40, v29, v21
	s_waitcnt lgkmcnt(1)
	v_mul_f32_e32 v41, v27, v9
	v_fmac_f32_e32 v40, v28, v20
	v_mul_f32_e32 v20, v29, v20
	v_fmac_f32_e32 v41, v26, v8
	v_mul_f32_e32 v8, v27, v8
	v_fma_f32 v21, v28, v21, -v20
	v_fma_f32 v8, v26, v9, -v8
	s_waitcnt vmcnt(0)
	v_mul_f32_e32 v9, v33, v11
	v_mul_f32_e32 v20, v33, v10
	v_fmac_f32_e32 v9, v32, v10
	v_fma_f32 v32, v32, v11, -v20
	v_add_u16_e32 v11, 0xa8, v14
	v_mul_lo_u16_sdwa v10, v11, v34 dst_sel:DWORD dst_unused:UNUSED_PAD src0_sel:BYTE_0 src1_sel:DWORD
	v_sub_u16_sdwa v20, v11, v10 dst_sel:DWORD dst_unused:UNUSED_PAD src0_sel:DWORD src1_sel:BYTE_1
	v_lshrrev_b16_e32 v20, 1, v20
	v_and_b32_e32 v20, 0x7f, v20
	v_add_u16_sdwa v10, v20, v10 dst_sel:DWORD dst_unused:UNUSED_PAD src0_sel:DWORD src1_sel:BYTE_1
	v_lshrrev_b16_e32 v10, 2, v10
	v_mul_lo_u16_e32 v20, 7, v10
	v_sub_u16_e32 v11, v11, v20
	v_lshlrev_b32_sdwa v20, v37, v11 dst_sel:DWORD dst_unused:UNUSED_PAD src0_sel:DWORD src1_sel:BYTE_0
	s_waitcnt lgkmcnt(0)
	v_mul_f32_e32 v33, v31, v3
	v_mul_f32_e32 v26, v31, v2
	v_fmac_f32_e32 v33, v30, v2
	v_fma_f32 v2, v30, v3, -v26
	global_load_dwordx4 v[26:29], v20, s[8:9]
	v_mov_b32_e32 v20, 3
	v_mad_u32_u24 v3, v38, s6, 0
	v_mad_u32_u24 v30, v35, s6, 0
	v_lshlrev_b32_sdwa v31, v20, v39 dst_sel:DWORD dst_unused:UNUSED_PAD src0_sel:DWORD src1_sel:BYTE_0
	v_lshlrev_b32_sdwa v34, v20, v36 dst_sel:DWORD dst_unused:UNUSED_PAD src0_sel:DWORD src1_sel:BYTE_0
	v_add3_u32 v31, v3, v31, v23
	v_add3_u32 v30, v30, v34, v23
	s_waitcnt vmcnt(0)
	s_barrier
	v_sub_f32_e32 v35, v41, v40
	v_mul_f32_e32 v34, v19, v29
	v_mul_f32_e32 v3, v18, v29
	;; [unrolled: 1-line block ×3, first 2 shown]
	v_fmac_f32_e32 v34, v18, v28
	v_fma_f32 v18, v19, v28, -v3
	v_mul_f32_e32 v3, v6, v27
	v_fmac_f32_e32 v29, v6, v26
	v_fma_f32 v19, v7, v26, -v3
	v_sub_f32_e32 v26, v2, v32
	v_add_f32_e32 v3, v13, v2
	v_add_f32_e32 v6, v2, v32
	;; [unrolled: 1-line block ×4, first 2 shown]
	v_sub_f32_e32 v27, v33, v9
	v_sub_f32_e32 v28, v8, v21
	v_add_f32_e32 v2, v2, v9
	v_add_f32_e32 v9, v1, v8
	;; [unrolled: 1-line block ×3, first 2 shown]
	v_fmac_f32_e32 v12, -0.5, v7
	v_add_f32_e32 v33, v41, v40
	v_fmac_f32_e32 v13, -0.5, v6
	v_add_f32_e32 v3, v3, v32
	v_add_f32_e32 v32, v0, v41
	;; [unrolled: 1-line block ×3, first 2 shown]
	v_fma_f32 v0, -0.5, v33, v0
	v_fmac_f32_e32 v1, -0.5, v8
	v_mov_b32_e32 v8, v12
	v_mov_b32_e32 v9, v13
	v_fmac_f32_e32 v12, 0x3f5db3d7, v26
	v_fmac_f32_e32 v13, 0xbf5db3d7, v27
	;; [unrolled: 1-line block ×4, first 2 shown]
	ds_write_b64 v31, v[12:13] offset:112
	ds_write2_b64 v31, v[2:3], v[8:9] offset1:7
	v_mov_b32_e32 v2, v0
	v_mov_b32_e32 v3, v1
	v_add_f32_e32 v6, v32, v40
	v_fmac_f32_e32 v2, 0xbf5db3d7, v28
	v_fmac_f32_e32 v3, 0x3f5db3d7, v35
	ds_write2_b64 v30, v[6:7], v[2:3] offset1:7
	v_add_f32_e32 v7, v29, v34
	v_add_f32_e32 v8, v19, v18
	v_add_f32_e32 v6, v4, v29
	v_fmac_f32_e32 v4, -0.5, v7
	v_add_f32_e32 v7, v5, v19
	v_fmac_f32_e32 v5, -0.5, v8
	v_sub_f32_e32 v12, v19, v18
	v_sub_f32_e32 v13, v29, v34
	v_mov_b32_e32 v8, v4
	v_mov_b32_e32 v9, v5
	v_fmac_f32_e32 v0, 0x3f5db3d7, v28
	v_fmac_f32_e32 v1, 0xbf5db3d7, v35
	v_add_f32_e32 v6, v6, v34
	v_add_f32_e32 v7, v7, v18
	v_fmac_f32_e32 v8, 0xbf5db3d7, v12
	v_fmac_f32_e32 v9, 0x3f5db3d7, v13
	ds_write_b64 v30, v[0:1] offset:112
	s_and_saveexec_b64 s[4:5], vcc
	s_cbranch_execz .LBB0_22
; %bb.21:
	v_mad_u32_u24 v10, v10, s6, 0
	v_lshlrev_b32_sdwa v11, v20, v11 dst_sel:DWORD dst_unused:UNUSED_PAD src0_sel:DWORD src1_sel:BYTE_0
	v_mul_f32_e32 v12, 0x3f5db3d7, v12
	v_mul_f32_e32 v13, 0x3f5db3d7, v13
	v_add3_u32 v10, v10, v11, v23
	v_sub_f32_e32 v5, v5, v13
	v_add_f32_e32 v4, v12, v4
	ds_write2_b64 v10, v[6:7], v[8:9] offset1:7
	ds_write_b64 v10, v[4:5] offset:112
.LBB0_22:
	s_or_b64 exec, exec, s[4:5]
	v_add_u32_e32 v4, 0x400, v15
	s_waitcnt lgkmcnt(0)
	s_barrier
	ds_read2_b64 v[10:13], v4 offset0:19 offset1:166
	ds_read_b64 v[18:19], v24
	ds_read_b64 v[20:21], v15 offset:3528
	v_cmp_gt_u32_e32 vcc, 63, v14
	s_and_saveexec_b64 s[4:5], vcc
	s_cbranch_execz .LBB0_24
; %bb.23:
	ds_read2_b64 v[2:5], v15 offset0:84 offset1:231
	v_add_u32_e32 v0, 0xa00, v15
	ds_read2_b64 v[6:9], v0 offset0:58 offset1:205
	s_waitcnt lgkmcnt(1)
	v_mov_b32_e32 v1, v5
	v_mov_b32_e32 v0, v4
.LBB0_24:
	s_or_b64 exec, exec, s[4:5]
	s_movk_i32 s6, 0x87
	v_mul_lo_u16_sdwa v4, v14, s6 dst_sel:DWORD dst_unused:UNUSED_PAD src0_sel:BYTE_0 src1_sel:DWORD
	v_sub_u16_sdwa v5, v14, v4 dst_sel:DWORD dst_unused:UNUSED_PAD src0_sel:DWORD src1_sel:BYTE_1
	v_lshrrev_b16_e32 v5, 1, v5
	v_and_b32_e32 v5, 0x7f, v5
	v_add_u16_sdwa v4, v5, v4 dst_sel:DWORD dst_unused:UNUSED_PAD src0_sel:DWORD src1_sel:BYTE_1
	v_lshrrev_b16_e32 v4, 4, v4
	v_and_b32_e32 v5, 15, v4
	v_mul_lo_u16_e32 v4, 21, v5
	v_sub_u16_e32 v32, v14, v4
	v_mov_b32_e32 v4, 3
	v_mul_u32_u24_sdwa v26, v32, v4 dst_sel:DWORD dst_unused:UNUSED_PAD src0_sel:BYTE_0 src1_sel:DWORD
	v_lshlrev_b32_e32 v33, 3, v26
	global_load_dwordx4 v[26:29], v33, s[8:9] offset:112
	global_load_dwordx2 v[30:31], v33, s[8:9] offset:128
	s_movk_i32 s7, 0x2a0
	v_and_b32_e32 v5, 0xffff, v5
	v_mad_u32_u24 v5, v5, s7, 0
	v_lshlrev_b32_sdwa v32, v4, v32 dst_sel:DWORD dst_unused:UNUSED_PAD src0_sel:DWORD src1_sel:BYTE_0
	v_add3_u32 v5, v5, v32, v23
	s_waitcnt vmcnt(0) lgkmcnt(0)
	s_barrier
	v_mul_f32_e32 v32, v27, v11
	v_mul_f32_e32 v27, v27, v10
	;; [unrolled: 1-line block ×6, first 2 shown]
	v_fmac_f32_e32 v32, v26, v10
	v_fma_f32 v10, v26, v11, -v27
	v_fmac_f32_e32 v33, v28, v12
	v_fma_f32 v11, v28, v13, -v29
	;; [unrolled: 2-line block ×3, first 2 shown]
	v_sub_f32_e32 v20, v18, v33
	v_sub_f32_e32 v21, v19, v11
	v_sub_f32_e32 v11, v32, v34
	v_sub_f32_e32 v12, v10, v12
	v_fma_f32 v26, v18, 2.0, -v20
	v_fma_f32 v27, v19, 2.0, -v21
	;; [unrolled: 1-line block ×4, first 2 shown]
	v_add_f32_e32 v10, v20, v12
	v_sub_f32_e32 v11, v21, v11
	v_sub_f32_e32 v12, v26, v13
	;; [unrolled: 1-line block ×3, first 2 shown]
	v_fma_f32 v18, v20, 2.0, -v10
	v_fma_f32 v19, v21, 2.0, -v11
	;; [unrolled: 1-line block ×4, first 2 shown]
	ds_write2_b64 v5, v[20:21], v[18:19] offset1:21
	ds_write2_b64 v5, v[12:13], v[10:11] offset0:42 offset1:63
	s_and_saveexec_b64 s[4:5], vcc
	s_cbranch_execz .LBB0_26
; %bb.25:
	v_mul_lo_u16_sdwa v5, v25, s6 dst_sel:DWORD dst_unused:UNUSED_PAD src0_sel:BYTE_0 src1_sel:DWORD
	v_sub_u16_sdwa v10, v25, v5 dst_sel:DWORD dst_unused:UNUSED_PAD src0_sel:DWORD src1_sel:BYTE_1
	v_lshrrev_b16_e32 v10, 1, v10
	v_and_b32_e32 v10, 0x7f, v10
	v_add_u16_sdwa v5, v10, v5 dst_sel:DWORD dst_unused:UNUSED_PAD src0_sel:DWORD src1_sel:BYTE_1
	v_lshrrev_b16_e32 v5, 4, v5
	v_and_b32_e32 v5, 15, v5
	v_mul_lo_u16_e32 v10, 21, v5
	v_sub_u16_e32 v20, v25, v10
	v_mul_u32_u24_sdwa v10, v20, v4 dst_sel:DWORD dst_unused:UNUSED_PAD src0_sel:BYTE_0 src1_sel:DWORD
	v_lshlrev_b32_e32 v21, 3, v10
	global_load_dwordx4 v[10:13], v21, s[8:9] offset:112
	global_load_dwordx2 v[18:19], v21, s[8:9] offset:128
	v_and_b32_e32 v5, 0xffff, v5
	v_mad_u32_u24 v5, v5, s7, 0
	v_lshlrev_b32_sdwa v4, v4, v20 dst_sel:DWORD dst_unused:UNUSED_PAD src0_sel:DWORD src1_sel:BYTE_0
	v_add3_u32 v20, v5, v4, v23
	s_waitcnt vmcnt(1)
	v_mul_f32_e32 v4, v6, v13
	v_mul_f32_e32 v5, v1, v11
	s_waitcnt vmcnt(0)
	v_mul_f32_e32 v21, v9, v19
	v_mul_f32_e32 v13, v7, v13
	v_mul_f32_e32 v11, v0, v11
	v_mul_f32_e32 v19, v8, v19
	v_fma_f32 v4, v7, v12, -v4
	v_fmac_f32_e32 v5, v0, v10
	v_fmac_f32_e32 v21, v8, v18
	;; [unrolled: 1-line block ×3, first 2 shown]
	v_fma_f32 v6, v1, v10, -v11
	v_fma_f32 v0, v9, v18, -v19
	v_sub_f32_e32 v4, v3, v4
	v_sub_f32_e32 v7, v5, v21
	;; [unrolled: 1-line block ×5, first 2 shown]
	v_add_f32_e32 v0, v8, v9
	v_fma_f32 v10, v3, 2.0, -v4
	v_fma_f32 v6, v6, 2.0, -v9
	;; [unrolled: 1-line block ×5, first 2 shown]
	v_sub_f32_e32 v5, v10, v6
	v_sub_f32_e32 v4, v9, v7
	v_fma_f32 v2, v8, 2.0, -v0
	v_fma_f32 v7, v10, 2.0, -v5
	;; [unrolled: 1-line block ×3, first 2 shown]
	ds_write2_b64 v20, v[6:7], v[2:3] offset1:21
	ds_write2_b64 v20, v[4:5], v[0:1] offset0:42 offset1:63
.LBB0_26:
	s_or_b64 exec, exec, s[4:5]
	v_mul_u32_u24_e32 v0, 6, v14
	v_lshlrev_b32_e32 v12, 3, v0
	s_waitcnt lgkmcnt(0)
	s_barrier
	global_load_dwordx4 v[0:3], v12, s[8:9] offset:616
	global_load_dwordx4 v[4:7], v12, s[8:9] offset:632
	;; [unrolled: 1-line block ×3, first 2 shown]
	v_add_u32_e32 v23, 0x400, v15
	ds_read_b64 v[12:13], v24
	ds_read2_b64 v[18:21], v15 offset0:84 offset1:168
	v_add_u32_e32 v31, 0x800, v15
	ds_read2_b64 v[23:26], v23 offset0:124 offset1:208
	ds_read2_b64 v[27:30], v31 offset0:164 offset1:248
	s_mov_b32 s5, 0x3f3bfb3b
	s_mov_b32 s6, 0xbf3bfb3b
	;; [unrolled: 1-line block ×3, first 2 shown]
	s_waitcnt vmcnt(0) lgkmcnt(0)
	s_barrier
	v_mul_f32_e32 v32, v1, v19
	v_mul_f32_e32 v1, v1, v18
	;; [unrolled: 1-line block ×12, first 2 shown]
	v_fmac_f32_e32 v32, v0, v18
	v_fma_f32 v0, v0, v19, -v1
	v_fmac_f32_e32 v33, v2, v20
	v_fma_f32 v1, v2, v21, -v3
	;; [unrolled: 2-line block ×6, first 2 shown]
	v_add_f32_e32 v6, v32, v37
	v_add_f32_e32 v7, v0, v5
	v_sub_f32_e32 v0, v0, v5
	v_add_f32_e32 v5, v33, v36
	v_add_f32_e32 v9, v1, v4
	v_sub_f32_e32 v10, v33, v36
	v_sub_f32_e32 v1, v1, v4
	v_add_f32_e32 v4, v34, v35
	v_add_f32_e32 v11, v2, v3
	v_sub_f32_e32 v18, v35, v34
	;; [unrolled: 4-line block ×3, first 2 shown]
	v_sub_f32_e32 v20, v5, v6
	v_sub_f32_e32 v21, v9, v7
	;; [unrolled: 1-line block ×5, first 2 shown]
	v_add_f32_e32 v23, v18, v10
	v_add_f32_e32 v24, v2, v1
	;; [unrolled: 1-line block ×4, first 2 shown]
	v_sub_f32_e32 v7, v7, v11
	v_sub_f32_e32 v25, v18, v10
	;; [unrolled: 1-line block ×7, first 2 shown]
	v_add_f32_e32 v8, v23, v8
	v_add_f32_e32 v11, v24, v0
	v_mul_f32_e32 v6, 0x3f4a47b2, v6
	v_mul_f32_e32 v19, 0x3d64c772, v5
	;; [unrolled: 1-line block ×3, first 2 shown]
	v_add_f32_e32 v0, v3, v12
	v_add_f32_e32 v1, v4, v13
	v_mul_f32_e32 v7, 0x3f4a47b2, v7
	v_mul_f32_e32 v24, 0x3f08b237, v25
	;; [unrolled: 1-line block ×3, first 2 shown]
	v_fma_f32 v12, v20, s5, -v19
	v_fma_f32 v13, v21, s5, -v23
	;; [unrolled: 1-line block ×3, first 2 shown]
	v_mov_b32_e32 v20, v0
	v_mov_b32_e32 v23, v1
	v_mul_f32_e32 v26, 0xbf5ff5aa, v10
	v_mul_f32_e32 v28, 0xbf5ff5aa, v27
	v_fmac_f32_e32 v20, 0xbf955555, v3
	v_fmac_f32_e32 v23, 0xbf955555, v4
	;; [unrolled: 1-line block ×3, first 2 shown]
	v_fma_f32 v3, v21, s6, -v7
	v_fmac_f32_e32 v7, 0x3d64c772, v9
	v_fma_f32 v9, v10, s4, -v24
	v_fmac_f32_e32 v24, 0xbeae86e6, v18
	;; [unrolled: 2-line block ×3, first 2 shown]
	s_mov_b32 s4, 0x3eae86e6
	v_fma_f32 v18, v18, s4, -v26
	v_fma_f32 v21, v2, s4, -v28
	v_add_f32_e32 v26, v6, v20
	v_add_f32_e32 v27, v7, v23
	v_fmac_f32_e32 v24, 0xbee1c552, v8
	v_fmac_f32_e32 v25, 0xbee1c552, v11
	v_add_f32_e32 v12, v12, v20
	v_add_f32_e32 v13, v13, v23
	;; [unrolled: 1-line block ×4, first 2 shown]
	v_fmac_f32_e32 v9, 0xbee1c552, v8
	v_fmac_f32_e32 v10, 0xbee1c552, v11
	;; [unrolled: 1-line block ×4, first 2 shown]
	v_add_f32_e32 v2, v25, v26
	v_sub_f32_e32 v3, v27, v24
	v_add_f32_e32 v4, v21, v19
	v_sub_f32_e32 v5, v20, v18
	v_sub_f32_e32 v6, v12, v10
	v_add_f32_e32 v7, v9, v13
	v_add_f32_e32 v8, v10, v12
	v_sub_f32_e32 v9, v13, v9
	v_sub_f32_e32 v10, v19, v21
	v_add_f32_e32 v11, v18, v20
	v_sub_f32_e32 v12, v26, v25
	v_add_f32_e32 v13, v24, v27
	ds_write2_b64 v15, v[0:1], v[2:3] offset1:84
	ds_write2_b64 v15, v[4:5], v[6:7] offset0:168 offset1:252
	ds_write2_b64 v31, v[8:9], v[10:11] offset0:80 offset1:164
	ds_write_b64 v15, v[12:13] offset:4032
	s_waitcnt lgkmcnt(0)
	s_barrier
	s_and_saveexec_b64 s[4:5], s[0:1]
	s_cbranch_execz .LBB0_28
; %bb.27:
	v_lshl_add_u32 v6, v14, 3, v22
	v_mov_b32_e32 v15, 0
	ds_read2_b64 v[0:3], v6 offset1:84
	v_mov_b32_e32 v4, s3
	v_add_co_u32_e32 v7, vcc, s2, v16
	v_addc_co_u32_e32 v8, vcc, v4, v17, vcc
	v_lshlrev_b64 v[4:5], 3, v[14:15]
	v_add_co_u32_e32 v4, vcc, v7, v4
	v_addc_co_u32_e32 v5, vcc, v8, v5, vcc
	s_waitcnt lgkmcnt(0)
	global_store_dwordx2 v[4:5], v[0:1], off
	v_add_u32_e32 v0, 0x54, v14
	v_mov_b32_e32 v1, v15
	v_lshlrev_b64 v[0:1], 3, v[0:1]
	v_add_u32_e32 v4, 0xa8, v14
	v_add_co_u32_e32 v0, vcc, v7, v0
	v_addc_co_u32_e32 v1, vcc, v8, v1, vcc
	global_store_dwordx2 v[0:1], v[2:3], off
	v_mov_b32_e32 v5, v15
	ds_read2_b64 v[0:3], v6 offset0:168 offset1:252
	v_lshlrev_b64 v[4:5], 3, v[4:5]
	v_add_co_u32_e32 v4, vcc, v7, v4
	v_addc_co_u32_e32 v5, vcc, v8, v5, vcc
	s_waitcnt lgkmcnt(0)
	global_store_dwordx2 v[4:5], v[0:1], off
	v_add_u32_e32 v0, 0xfc, v14
	v_mov_b32_e32 v1, v15
	v_lshlrev_b64 v[0:1], 3, v[0:1]
	v_add_u32_e32 v4, 0x150, v14
	v_add_co_u32_e32 v0, vcc, v7, v0
	v_addc_co_u32_e32 v1, vcc, v8, v1, vcc
	global_store_dwordx2 v[0:1], v[2:3], off
	v_add_u32_e32 v0, 0x800, v6
	v_mov_b32_e32 v5, v15
	ds_read2_b64 v[0:3], v0 offset0:80 offset1:164
	v_lshlrev_b64 v[4:5], 3, v[4:5]
	v_add_co_u32_e32 v4, vcc, v7, v4
	v_addc_co_u32_e32 v5, vcc, v8, v5, vcc
	s_waitcnt lgkmcnt(0)
	global_store_dwordx2 v[4:5], v[0:1], off
	v_add_u32_e32 v0, 0x1a4, v14
	v_mov_b32_e32 v1, v15
	v_lshlrev_b64 v[0:1], 3, v[0:1]
	v_add_u32_e32 v14, 0x1f8, v14
	v_add_co_u32_e32 v0, vcc, v7, v0
	v_addc_co_u32_e32 v1, vcc, v8, v1, vcc
	global_store_dwordx2 v[0:1], v[2:3], off
	ds_read_b64 v[0:1], v6 offset:4032
	v_lshlrev_b64 v[2:3], 3, v[14:15]
	v_add_co_u32_e32 v2, vcc, v7, v2
	v_addc_co_u32_e32 v3, vcc, v8, v3, vcc
	s_waitcnt lgkmcnt(0)
	global_store_dwordx2 v[2:3], v[0:1], off
.LBB0_28:
	s_endpgm
	.section	.rodata,"a",@progbits
	.p2align	6, 0x0
	.amdhsa_kernel fft_rtc_back_len588_factors_7_3_4_7_wgs_252_tpt_84_sp_ip_CI_unitstride_sbrr_C2R_dirReg
		.amdhsa_group_segment_fixed_size 0
		.amdhsa_private_segment_fixed_size 0
		.amdhsa_kernarg_size 88
		.amdhsa_user_sgpr_count 6
		.amdhsa_user_sgpr_private_segment_buffer 1
		.amdhsa_user_sgpr_dispatch_ptr 0
		.amdhsa_user_sgpr_queue_ptr 0
		.amdhsa_user_sgpr_kernarg_segment_ptr 1
		.amdhsa_user_sgpr_dispatch_id 0
		.amdhsa_user_sgpr_flat_scratch_init 0
		.amdhsa_user_sgpr_private_segment_size 0
		.amdhsa_uses_dynamic_stack 0
		.amdhsa_system_sgpr_private_segment_wavefront_offset 0
		.amdhsa_system_sgpr_workgroup_id_x 1
		.amdhsa_system_sgpr_workgroup_id_y 0
		.amdhsa_system_sgpr_workgroup_id_z 0
		.amdhsa_system_sgpr_workgroup_info 0
		.amdhsa_system_vgpr_workitem_id 0
		.amdhsa_next_free_vgpr 42
		.amdhsa_next_free_sgpr 22
		.amdhsa_reserve_vcc 1
		.amdhsa_reserve_flat_scratch 0
		.amdhsa_float_round_mode_32 0
		.amdhsa_float_round_mode_16_64 0
		.amdhsa_float_denorm_mode_32 3
		.amdhsa_float_denorm_mode_16_64 3
		.amdhsa_dx10_clamp 1
		.amdhsa_ieee_mode 1
		.amdhsa_fp16_overflow 0
		.amdhsa_exception_fp_ieee_invalid_op 0
		.amdhsa_exception_fp_denorm_src 0
		.amdhsa_exception_fp_ieee_div_zero 0
		.amdhsa_exception_fp_ieee_overflow 0
		.amdhsa_exception_fp_ieee_underflow 0
		.amdhsa_exception_fp_ieee_inexact 0
		.amdhsa_exception_int_div_zero 0
	.end_amdhsa_kernel
	.text
.Lfunc_end0:
	.size	fft_rtc_back_len588_factors_7_3_4_7_wgs_252_tpt_84_sp_ip_CI_unitstride_sbrr_C2R_dirReg, .Lfunc_end0-fft_rtc_back_len588_factors_7_3_4_7_wgs_252_tpt_84_sp_ip_CI_unitstride_sbrr_C2R_dirReg
                                        ; -- End function
	.section	.AMDGPU.csdata,"",@progbits
; Kernel info:
; codeLenInByte = 5260
; NumSgprs: 26
; NumVgprs: 42
; ScratchSize: 0
; MemoryBound: 0
; FloatMode: 240
; IeeeMode: 1
; LDSByteSize: 0 bytes/workgroup (compile time only)
; SGPRBlocks: 3
; VGPRBlocks: 10
; NumSGPRsForWavesPerEU: 26
; NumVGPRsForWavesPerEU: 42
; Occupancy: 5
; WaveLimiterHint : 1
; COMPUTE_PGM_RSRC2:SCRATCH_EN: 0
; COMPUTE_PGM_RSRC2:USER_SGPR: 6
; COMPUTE_PGM_RSRC2:TRAP_HANDLER: 0
; COMPUTE_PGM_RSRC2:TGID_X_EN: 1
; COMPUTE_PGM_RSRC2:TGID_Y_EN: 0
; COMPUTE_PGM_RSRC2:TGID_Z_EN: 0
; COMPUTE_PGM_RSRC2:TIDIG_COMP_CNT: 0
	.type	__hip_cuid_fb6a5fae9df9ea97,@object ; @__hip_cuid_fb6a5fae9df9ea97
	.section	.bss,"aw",@nobits
	.globl	__hip_cuid_fb6a5fae9df9ea97
__hip_cuid_fb6a5fae9df9ea97:
	.byte	0                               ; 0x0
	.size	__hip_cuid_fb6a5fae9df9ea97, 1

	.ident	"AMD clang version 19.0.0git (https://github.com/RadeonOpenCompute/llvm-project roc-6.4.0 25133 c7fe45cf4b819c5991fe208aaa96edf142730f1d)"
	.section	".note.GNU-stack","",@progbits
	.addrsig
	.addrsig_sym __hip_cuid_fb6a5fae9df9ea97
	.amdgpu_metadata
---
amdhsa.kernels:
  - .args:
      - .actual_access:  read_only
        .address_space:  global
        .offset:         0
        .size:           8
        .value_kind:     global_buffer
      - .offset:         8
        .size:           8
        .value_kind:     by_value
      - .actual_access:  read_only
        .address_space:  global
        .offset:         16
        .size:           8
        .value_kind:     global_buffer
      - .actual_access:  read_only
        .address_space:  global
        .offset:         24
        .size:           8
        .value_kind:     global_buffer
      - .offset:         32
        .size:           8
        .value_kind:     by_value
      - .actual_access:  read_only
        .address_space:  global
        .offset:         40
        .size:           8
        .value_kind:     global_buffer
      - .actual_access:  read_only
        .address_space:  global
        .offset:         48
        .size:           8
        .value_kind:     global_buffer
      - .offset:         56
        .size:           4
        .value_kind:     by_value
      - .actual_access:  read_only
        .address_space:  global
        .offset:         64
        .size:           8
        .value_kind:     global_buffer
      - .actual_access:  read_only
        .address_space:  global
        .offset:         72
        .size:           8
        .value_kind:     global_buffer
      - .address_space:  global
        .offset:         80
        .size:           8
        .value_kind:     global_buffer
    .group_segment_fixed_size: 0
    .kernarg_segment_align: 8
    .kernarg_segment_size: 88
    .language:       OpenCL C
    .language_version:
      - 2
      - 0
    .max_flat_workgroup_size: 252
    .name:           fft_rtc_back_len588_factors_7_3_4_7_wgs_252_tpt_84_sp_ip_CI_unitstride_sbrr_C2R_dirReg
    .private_segment_fixed_size: 0
    .sgpr_count:     26
    .sgpr_spill_count: 0
    .symbol:         fft_rtc_back_len588_factors_7_3_4_7_wgs_252_tpt_84_sp_ip_CI_unitstride_sbrr_C2R_dirReg.kd
    .uniform_work_group_size: 1
    .uses_dynamic_stack: false
    .vgpr_count:     42
    .vgpr_spill_count: 0
    .wavefront_size: 64
amdhsa.target:   amdgcn-amd-amdhsa--gfx906
amdhsa.version:
  - 1
  - 2
...

	.end_amdgpu_metadata
